;; amdgpu-corpus repo=ROCm/rocFFT kind=compiled arch=gfx1201 opt=O3
	.text
	.amdgcn_target "amdgcn-amd-amdhsa--gfx1201"
	.amdhsa_code_object_version 6
	.protected	bluestein_single_fwd_len1000_dim1_dp_op_CI_CI ; -- Begin function bluestein_single_fwd_len1000_dim1_dp_op_CI_CI
	.globl	bluestein_single_fwd_len1000_dim1_dp_op_CI_CI
	.p2align	8
	.type	bluestein_single_fwd_len1000_dim1_dp_op_CI_CI,@function
bluestein_single_fwd_len1000_dim1_dp_op_CI_CI: ; @bluestein_single_fwd_len1000_dim1_dp_op_CI_CI
; %bb.0:
	s_load_b128 s[12:15], s[0:1], 0x28
	v_mul_u32_u24_e32 v1, 0x290, v0
	s_mov_b32 s2, exec_lo
	v_mov_b32_e32 v113, 0
	s_delay_alu instid0(VALU_DEP_2) | instskip(NEXT) | instid1(VALU_DEP_1)
	v_lshrrev_b32_e32 v1, 16, v1
	v_add_nc_u32_e32 v112, ttmp9, v1
	s_wait_kmcnt 0x0
	s_delay_alu instid0(VALU_DEP_1)
	v_cmpx_gt_u64_e64 s[12:13], v[112:113]
	s_cbranch_execz .LBB0_2
; %bb.1:
	s_clause 0x1
	s_load_b128 s[4:7], s[0:1], 0x18
	s_load_b128 s[8:11], s[0:1], 0x0
	v_mul_lo_u16 v1, 0x64, v1
	s_mov_b32 s12, 0x4755a5e
	s_mov_b32 s13, 0x3fe2cf23
	;; [unrolled: 1-line block ×4, first 2 shown]
	v_sub_nc_u16 v40, v0, v1
	s_mov_b32 s23, 0xbfd3c6ef
	s_mov_b32 s25, 0xbfe9e377
	;; [unrolled: 1-line block ×3, first 2 shown]
	s_load_b64 s[0:1], s[0:1], 0x38
	v_and_b32_e32 v113, 0xffff, v40
	s_delay_alu instid0(VALU_DEP_1)
	v_lshlrev_b32_e32 v114, 4, v113
	s_wait_kmcnt 0x0
	s_load_b128 s[16:19], s[4:5], 0x0
	s_wait_kmcnt 0x0
	v_mad_co_u64_u32 v[0:1], null, s18, v112, 0
	v_mad_co_u64_u32 v[2:3], null, s16, v113, 0
	s_mul_u64 s[2:3], s[16:17], 0x640
	s_mov_b32 s18, s12
	s_delay_alu instid0(VALU_DEP_1) | instskip(SKIP_1) | instid1(VALU_DEP_1)
	v_mad_co_u64_u32 v[4:5], null, s19, v112, v[1:2]
	s_mov_b32 s19, 0xbfe2cf23
	v_mad_co_u64_u32 v[5:6], null, s17, v113, v[3:4]
	v_mov_b32_e32 v1, v4
	s_mov_b32 s16, 0x372fe950
	s_mov_b32 s17, 0x3fd3c6ef
	s_wait_alu 0xfffe
	s_mov_b32 s22, s16
	v_lshlrev_b64_e32 v[0:1], 4, v[0:1]
	s_delay_alu instid0(VALU_DEP_3) | instskip(NEXT) | instid1(VALU_DEP_2)
	v_mov_b32_e32 v3, v5
	v_add_co_u32 v10, vcc_lo, s14, v0
	s_delay_alu instid0(VALU_DEP_2) | instskip(NEXT) | instid1(VALU_DEP_4)
	v_lshlrev_b64_e32 v[8:9], 4, v[2:3]
	v_add_co_ci_u32_e32 v11, vcc_lo, s15, v1, vcc_lo
	s_clause 0x1
	global_load_b128 v[4:7], v114, s[8:9]
	global_load_b128 v[0:3], v114, s[8:9] offset:1600
	s_mov_b32 s15, 0xbfee6f0e
	v_add_co_u32 v32, vcc_lo, v10, v8
	s_wait_alu 0xfffd
	v_add_co_ci_u32_e32 v33, vcc_lo, v11, v9, vcc_lo
	s_clause 0x1
	global_load_b128 v[12:15], v114, s[8:9] offset:3200
	global_load_b128 v[8:11], v114, s[8:9] offset:4800
	v_add_co_u32 v34, vcc_lo, v32, s2
	s_wait_alu 0xfffd
	v_add_co_ci_u32_e32 v35, vcc_lo, s3, v33, vcc_lo
	s_clause 0x1
	global_load_b128 v[20:23], v114, s[8:9] offset:6400
	global_load_b128 v[16:19], v114, s[8:9] offset:8000
	;; [unrolled: 6-line block ×3, first 2 shown]
	v_add_co_u32 v38, vcc_lo, v36, s2
	s_wait_alu 0xfffd
	v_add_co_ci_u32_e32 v39, vcc_lo, s3, v37, vcc_lo
	global_load_b128 v[41:44], v[32:33], off
	v_add_co_u32 v57, vcc_lo, v38, s2
	s_wait_alu 0xfffd
	v_add_co_ci_u32_e32 v58, vcc_lo, s3, v39, vcc_lo
	s_clause 0x1
	global_load_b128 v[45:48], v[34:35], off
	global_load_b128 v[49:52], v[36:37], off
	v_add_co_u32 v32, vcc_lo, v57, s2
	s_wait_alu 0xfffd
	v_add_co_ci_u32_e32 v33, vcc_lo, s3, v58, vcc_lo
	s_clause 0x1
	global_load_b128 v[53:56], v[38:39], off
	global_load_b128 v[57:60], v[57:58], off
	v_add_co_u32 v34, vcc_lo, v32, s2
	s_wait_alu 0xfffd
	v_add_co_ci_u32_e32 v35, vcc_lo, s3, v33, vcc_lo
	global_load_b128 v[61:64], v[32:33], off
	v_add_co_u32 v36, vcc_lo, v34, s2
	s_wait_alu 0xfffd
	v_add_co_ci_u32_e32 v37, vcc_lo, s3, v35, vcc_lo
	;; [unrolled: 4-line block ×3, first 2 shown]
	s_delay_alu instid0(VALU_DEP_2) | instskip(SKIP_1) | instid1(VALU_DEP_2)
	v_add_co_u32 v77, vcc_lo, v32, s2
	s_wait_alu 0xfffd
	v_add_co_ci_u32_e32 v78, vcc_lo, s3, v33, vcc_lo
	global_load_b128 v[69:72], v[36:37], off
	global_load_b128 v[73:76], v[32:33], off
	s_clause 0x1
	global_load_b128 v[32:35], v114, s[8:9] offset:12800
	global_load_b128 v[36:39], v114, s[8:9] offset:14400
	global_load_b128 v[77:80], v[77:78], off
	s_load_b128 s[4:7], s[6:7], 0x0
	s_mov_b32 s2, 0x134454ff
	s_mov_b32 s3, 0x3fee6f0e
	s_wait_alu 0xfffe
	s_mov_b32 s14, s2
	s_wait_loadcnt 0xb
	v_mul_f64_e32 v[81:82], v[43:44], v[6:7]
	v_mul_f64_e32 v[83:84], v[41:42], v[6:7]
	s_wait_loadcnt 0xa
	v_mul_f64_e32 v[85:86], v[47:48], v[2:3]
	v_mul_f64_e32 v[87:88], v[45:46], v[2:3]
	;; [unrolled: 3-line block ×10, first 2 shown]
	v_fma_f64 v[41:42], v[41:42], v[4:5], v[81:82]
	v_fma_f64 v[43:44], v[43:44], v[4:5], -v[83:84]
	v_fma_f64 v[45:46], v[45:46], v[0:1], v[85:86]
	v_fma_f64 v[47:48], v[47:48], v[0:1], -v[87:88]
	;; [unrolled: 2-line block ×10, first 2 shown]
	ds_store_b128 v114, v[41:44]
	ds_store_b128 v114, v[45:48] offset:1600
	ds_store_b128 v114, v[49:52] offset:3200
	;; [unrolled: 1-line block ×9, first 2 shown]
	global_wb scope:SCOPE_SE
	s_wait_dscnt 0x0
	s_wait_kmcnt 0x0
	s_barrier_signal -1
	s_barrier_wait -1
	global_inv scope:SCOPE_SE
	ds_load_b128 v[41:44], v114 offset:8000
	ds_load_b128 v[45:48], v114 offset:11200
	;; [unrolled: 1-line block ×9, first 2 shown]
	ds_load_b128 v[77:80], v114
	global_wb scope:SCOPE_SE
	s_wait_dscnt 0x0
	s_barrier_signal -1
	s_barrier_wait -1
	global_inv scope:SCOPE_SE
	v_add_f64_e32 v[81:82], v[41:42], v[45:46]
	v_add_f64_e32 v[87:88], v[43:44], v[47:48]
	;; [unrolled: 1-line block ×4, first 2 shown]
	v_add_f64_e64 v[89:90], v[55:56], -v[51:52]
	v_add_f64_e64 v[93:94], v[41:42], -v[45:46]
	;; [unrolled: 1-line block ×4, first 2 shown]
	v_add_f64_e32 v[97:98], v[61:62], v[65:66]
	v_add_f64_e32 v[99:100], v[57:58], v[69:70]
	;; [unrolled: 1-line block ×4, first 2 shown]
	v_add_f64_e64 v[105:106], v[53:54], -v[41:42]
	v_add_f64_e64 v[107:108], v[49:50], -v[45:46]
	;; [unrolled: 1-line block ×8, first 2 shown]
	v_add_f64_e32 v[133:134], v[77:78], v[57:58]
	v_add_f64_e32 v[139:140], v[79:80], v[59:60]
	;; [unrolled: 1-line block ×4, first 2 shown]
	v_add_f64_e64 v[135:136], v[59:60], -v[71:72]
	v_add_f64_e64 v[137:138], v[63:64], -v[67:68]
	;; [unrolled: 1-line block ×3, first 2 shown]
	v_fma_f64 v[81:82], v[81:82], -0.5, v[73:74]
	v_fma_f64 v[87:88], v[87:88], -0.5, v[75:76]
	;; [unrolled: 1-line block ×4, first 2 shown]
	v_add_f64_e64 v[75:76], v[61:62], -v[65:66]
	v_fma_f64 v[73:74], v[97:98], -0.5, v[77:78]
	v_fma_f64 v[77:78], v[99:100], -0.5, v[77:78]
	;; [unrolled: 1-line block ×4, first 2 shown]
	v_add_f64_e32 v[99:100], v[105:106], v[107:108]
	v_add_f64_e32 v[103:104], v[117:118], v[119:120]
	v_add_f64_e64 v[119:120], v[59:60], -v[63:64]
	v_add_f64_e32 v[101:102], v[109:110], v[115:116]
	v_add_f64_e64 v[59:60], v[63:64], -v[59:60]
	v_add_f64_e64 v[115:116], v[69:70], -v[65:66]
	;; [unrolled: 1-line block ×3, first 2 shown]
	v_add_f64_e32 v[63:64], v[139:140], v[63:64]
	v_add_f64_e32 v[41:42], v[53:54], v[41:42]
	;; [unrolled: 1-line block ×3, first 2 shown]
	v_fma_f64 v[123:124], v[89:90], s[2:3], v[81:82]
	s_wait_alu 0xfffe
	v_fma_f64 v[81:82], v[89:90], s[14:15], v[81:82]
	v_fma_f64 v[125:126], v[93:94], s[2:3], v[83:84]
	;; [unrolled: 1-line block ×11, first 2 shown]
	v_add_f64_e32 v[63:64], v[63:64], v[67:68]
	v_add_f64_e32 v[41:42], v[41:42], v[45:46]
	;; [unrolled: 1-line block ×3, first 2 shown]
	v_fma_f64 v[105:106], v[91:92], s[12:13], v[123:124]
	v_fma_f64 v[81:82], v[91:92], s[18:19], v[81:82]
	;; [unrolled: 1-line block ×6, first 2 shown]
	v_add_f64_e32 v[91:92], v[121:122], v[129:130]
	v_fma_f64 v[89:90], v[93:94], s[12:13], v[131:132]
	v_add_f64_e64 v[95:96], v[57:58], -v[61:62]
	v_add_f64_e64 v[57:58], v[61:62], -v[57:58]
	v_add_f64_e32 v[61:62], v[133:134], v[61:62]
	v_add_f64_e64 v[121:122], v[71:72], -v[67:68]
	v_fma_f64 v[125:126], v[141:142], s[14:15], v[97:98]
	v_fma_f64 v[97:98], v[141:142], s[2:3], v[97:98]
	;; [unrolled: 1-line block ×5, first 2 shown]
	v_add_f64_e64 v[123:124], v[67:68], -v[71:72]
	v_fma_f64 v[45:46], v[137:138], s[12:13], v[53:54]
	v_fma_f64 v[47:48], v[137:138], s[18:19], v[55:56]
	;; [unrolled: 1-line block ×4, first 2 shown]
	v_add_f64_e32 v[63:64], v[63:64], v[71:72]
	v_add_f64_e32 v[49:50], v[41:42], v[49:50]
	;; [unrolled: 1-line block ×3, first 2 shown]
	v_and_b32_e32 v41, 0xff, v40
	v_fma_f64 v[93:94], v[99:100], s[16:17], v[105:106]
	v_fma_f64 v[81:82], v[99:100], s[16:17], v[81:82]
	;; [unrolled: 1-line block ×7, first 2 shown]
	v_add_f64_e32 v[95:96], v[95:96], v[115:116]
	v_add_f64_e32 v[57:58], v[57:58], v[117:118]
	;; [unrolled: 1-line block ×4, first 2 shown]
	v_fma_f64 v[65:66], v[75:76], s[18:19], v[125:126]
	v_fma_f64 v[67:68], v[75:76], s[12:13], v[97:98]
	;; [unrolled: 1-line block ×5, first 2 shown]
	v_add_f64_e32 v[59:60], v[59:60], v[123:124]
	v_add_f64_e32 v[43:44], v[63:64], v[51:52]
	v_mul_f64_e32 v[79:80], s[20:21], v[93:94]
	v_mul_f64_e32 v[93:94], s[18:19], v[93:94]
	;; [unrolled: 1-line block ×8, first 2 shown]
	v_fma_f64 v[71:72], v[95:96], s[16:17], v[47:48]
	v_fma_f64 v[115:116], v[57:58], s[16:17], v[55:56]
	v_add_f64_e32 v[61:62], v[61:62], v[69:70]
	v_fma_f64 v[69:70], v[95:96], s[16:17], v[45:46]
	v_fma_f64 v[117:118], v[99:100], s[16:17], v[65:66]
	;; [unrolled: 1-line block ×4, first 2 shown]
	v_add_f64_e64 v[47:48], v[63:64], -v[51:52]
	v_fma_f64 v[73:74], v[59:60], s[16:17], v[73:74]
	v_fma_f64 v[75:76], v[59:60], s[16:17], v[75:76]
	v_fma_f64 v[65:66], v[77:78], s[12:13], v[79:80]
	v_fma_f64 v[67:68], v[85:86], s[16:17], v[87:88]
	v_fma_f64 v[85:86], v[77:78], s[20:21], v[93:94]
	v_fma_f64 v[87:88], v[105:106], s[16:17], v[101:102]
	v_fma_f64 v[79:80], v[83:84], s[2:3], v[91:92]
	v_fma_f64 v[83:84], v[89:90], s[12:13], v[97:98]
	v_fma_f64 v[89:90], v[107:108], s[14:15], v[103:104]
	v_fma_f64 v[91:92], v[81:82], s[18:19], v[109:110]
	v_mul_lo_u16 v77, 0xcd, v41
	v_add_f64_e32 v[41:42], v[61:62], v[49:50]
	v_add_f64_e64 v[45:46], v[61:62], -v[49:50]
	s_delay_alu instid0(VALU_DEP_3)
	v_lshrrev_b16 v77, 11, v77
	v_add_f64_e32 v[49:50], v[69:70], v[65:66]
	v_add_f64_e64 v[65:66], v[69:70], -v[65:66]
	v_add_f64_e32 v[53:54], v[95:96], v[67:68]
	v_add_f64_e32 v[51:52], v[117:118], v[85:86]
	;; [unrolled: 1-line block ×7, first 2 shown]
	v_add_f64_e64 v[69:70], v[95:96], -v[67:68]
	v_add_f64_e64 v[67:68], v[117:118], -v[85:86]
	;; [unrolled: 1-line block ×7, first 2 shown]
	v_mul_lo_u16 v73, v77, 10
	v_mul_lo_u16 v74, v40, 10
	v_and_b32_e32 v77, 0xffff, v77
	s_delay_alu instid0(VALU_DEP_3) | instskip(NEXT) | instid1(VALU_DEP_3)
	v_sub_nc_u16 v40, v40, v73
	v_and_b32_e32 v73, 0xffff, v74
	s_delay_alu instid0(VALU_DEP_3) | instskip(NEXT) | instid1(VALU_DEP_3)
	v_mul_u32_u24_e32 v77, 0x64, v77
	v_and_b32_e32 v76, 0xff, v40
	s_delay_alu instid0(VALU_DEP_3)
	v_lshlrev_b32_e32 v115, 4, v73
	ds_store_b128 v115, v[41:44]
	ds_store_b128 v115, v[49:52] offset:16
	ds_store_b128 v115, v[53:56] offset:32
	;; [unrolled: 1-line block ×9, first 2 shown]
	v_mad_co_u64_u32 v[86:87], null, 0x90, v76, s[10:11]
	global_wb scope:SCOPE_SE
	s_wait_dscnt 0x0
	s_barrier_signal -1
	s_barrier_wait -1
	global_inv scope:SCOPE_SE
	s_clause 0x8
	global_load_b128 v[40:43], v[86:87], off offset:32
	global_load_b128 v[48:51], v[86:87], off offset:64
	;; [unrolled: 1-line block ×4, first 2 shown]
	global_load_b128 v[52:55], v[86:87], off
	global_load_b128 v[68:71], v[86:87], off offset:16
	global_load_b128 v[64:67], v[86:87], off offset:48
	;; [unrolled: 1-line block ×4, first 2 shown]
	ds_load_b128 v[78:81], v114 offset:4800
	ds_load_b128 v[82:85], v114 offset:8000
	;; [unrolled: 1-line block ×9, first 2 shown]
	ds_load_b128 v[120:123], v114
	global_wb scope:SCOPE_SE
	s_wait_loadcnt_dscnt 0x0
	s_barrier_signal -1
	s_barrier_wait -1
	global_inv scope:SCOPE_SE
	v_mul_f64_e32 v[124:125], v[78:79], v[42:43]
	v_mul_f64_e32 v[126:127], v[84:85], v[50:51]
	;; [unrolled: 1-line block ×10, first 2 shown]
	v_fma_f64 v[80:81], v[80:81], v[40:41], v[124:125]
	v_fma_f64 v[82:83], v[82:83], v[48:49], -v[126:127]
	v_fma_f64 v[84:85], v[84:85], v[48:49], v[128:129]
	v_fma_f64 v[88:89], v[88:89], v[44:45], v[130:131]
	;; [unrolled: 1-line block ×3, first 2 shown]
	v_fma_f64 v[86:87], v[86:87], v[44:45], -v[136:137]
	v_fma_f64 v[78:79], v[78:79], v[40:41], -v[110:111]
	;; [unrolled: 1-line block ×3, first 2 shown]
	v_mul_f64_e32 v[110:111], v[96:97], v[70:71]
	v_mul_f64_e32 v[124:125], v[94:95], v[70:71]
	;; [unrolled: 1-line block ×8, first 2 shown]
	v_fma_f64 v[116:117], v[116:117], v[52:53], -v[138:139]
	v_fma_f64 v[118:119], v[118:119], v[52:53], v[140:141]
	v_add_f64_e64 v[154:155], v[80:81], -v[84:85]
	v_add_f64_e32 v[138:139], v[84:85], v[88:89]
	v_add_f64_e32 v[140:141], v[80:81], v[92:93]
	;; [unrolled: 1-line block ×3, first 2 shown]
	v_add_f64_e64 v[146:147], v[78:79], -v[82:83]
	v_add_f64_e32 v[142:143], v[78:79], v[90:91]
	v_fma_f64 v[94:95], v[94:95], v[68:69], -v[110:111]
	v_fma_f64 v[96:97], v[96:97], v[68:69], v[124:125]
	v_fma_f64 v[98:99], v[98:99], v[64:65], -v[126:127]
	v_fma_f64 v[100:101], v[100:101], v[64:65], v[128:129]
	v_fma_f64 v[102:103], v[102:103], v[60:61], -v[130:131]
	v_fma_f64 v[106:107], v[106:107], v[56:57], -v[132:133]
	v_fma_f64 v[104:105], v[104:105], v[60:61], v[134:135]
	v_fma_f64 v[108:109], v[108:109], v[56:57], v[136:137]
	v_add_f64_e64 v[110:111], v[80:81], -v[92:93]
	v_add_f64_e64 v[126:127], v[78:79], -v[90:91]
	v_add_f64_e64 v[128:129], v[82:83], -v[86:87]
	v_add_f64_e64 v[124:125], v[84:85], -v[88:89]
	v_add_f64_e64 v[148:149], v[90:91], -v[86:87]
	v_add_f64_e64 v[150:151], v[82:83], -v[78:79]
	v_add_f64_e64 v[152:153], v[86:87], -v[90:91]
	v_add_f64_e64 v[156:157], v[92:93], -v[88:89]
	v_add_f64_e64 v[158:159], v[84:85], -v[80:81]
	v_add_f64_e64 v[160:161], v[88:89], -v[92:93]
	v_add_f64_e32 v[78:79], v[116:117], v[78:79]
	v_add_f64_e32 v[80:81], v[118:119], v[80:81]
	v_fma_f64 v[130:131], v[138:139], -0.5, v[118:119]
	v_fma_f64 v[132:133], v[140:141], -0.5, v[118:119]
	;; [unrolled: 1-line block ×4, first 2 shown]
	v_add_f64_e32 v[170:171], v[120:121], v[94:95]
	v_add_f64_e32 v[176:177], v[122:123], v[96:97]
	v_add_f64_e32 v[138:139], v[98:99], v[102:103]
	v_add_f64_e32 v[140:141], v[94:95], v[106:107]
	v_add_f64_e32 v[142:143], v[100:101], v[104:105]
	v_add_f64_e32 v[144:145], v[96:97], v[108:109]
	v_add_f64_e64 v[172:173], v[96:97], -v[108:109]
	v_add_f64_e64 v[174:175], v[100:101], -v[104:105]
	;; [unrolled: 1-line block ×4, first 2 shown]
	v_add_f64_e32 v[78:79], v[78:79], v[82:83]
	v_add_f64_e32 v[80:81], v[80:81], v[84:85]
	v_fma_f64 v[162:163], v[126:127], s[14:15], v[130:131]
	v_fma_f64 v[164:165], v[128:129], s[2:3], v[132:133]
	;; [unrolled: 1-line block ×8, first 2 shown]
	v_fma_f64 v[118:119], v[138:139], -0.5, v[120:121]
	v_fma_f64 v[120:121], v[140:141], -0.5, v[120:121]
	;; [unrolled: 1-line block ×4, first 2 shown]
	v_add_f64_e32 v[140:141], v[146:147], v[148:149]
	v_add_f64_e32 v[142:143], v[150:151], v[152:153]
	;; [unrolled: 1-line block ×4, first 2 shown]
	v_add_f64_e64 v[156:157], v[108:109], -v[104:105]
	v_add_f64_e64 v[158:159], v[104:105], -v[108:109]
	v_add_f64_e32 v[78:79], v[78:79], v[86:87]
	v_add_f64_e32 v[80:81], v[80:81], v[88:89]
	v_fma_f64 v[148:149], v[128:129], s[18:19], v[162:163]
	v_fma_f64 v[150:151], v[126:127], s[18:19], v[164:165]
	;; [unrolled: 1-line block ×8, first 2 shown]
	v_add_f64_e64 v[130:131], v[94:95], -v[98:99]
	v_add_f64_e64 v[94:95], v[98:99], -v[94:95]
	;; [unrolled: 1-line block ×4, first 2 shown]
	v_add_f64_e32 v[98:99], v[170:171], v[98:99]
	v_add_f64_e32 v[100:101], v[176:177], v[100:101]
	v_add_f64_e64 v[132:133], v[106:107], -v[102:103]
	v_fma_f64 v[82:83], v[172:173], s[2:3], v[118:119]
	v_fma_f64 v[84:85], v[172:173], s[14:15], v[118:119]
	;; [unrolled: 1-line block ×8, first 2 shown]
	v_add_f64_e64 v[134:135], v[102:103], -v[106:107]
	v_add_f64_e32 v[90:91], v[78:79], v[90:91]
	v_add_f64_e32 v[92:93], v[80:81], v[92:93]
	v_fma_f64 v[148:149], v[144:145], s[16:17], v[148:149]
	v_fma_f64 v[150:151], v[146:147], s[16:17], v[150:151]
	;; [unrolled: 1-line block ×8, first 2 shown]
	v_add_f64_e32 v[96:97], v[96:97], v[158:159]
	v_add_f64_e32 v[98:99], v[98:99], v[102:103]
	;; [unrolled: 1-line block ×5, first 2 shown]
	v_fma_f64 v[82:83], v[174:175], s[12:13], v[82:83]
	v_fma_f64 v[86:87], v[172:173], s[12:13], v[118:119]
	;; [unrolled: 1-line block ×7, first 2 shown]
	v_add_f64_e32 v[94:95], v[94:95], v[134:135]
	v_fma_f64 v[116:117], v[178:179], s[18:19], v[162:163]
	v_mul_f64_e32 v[120:121], s[12:13], v[148:149]
	v_mul_f64_e32 v[122:123], s[2:3], v[150:151]
	;; [unrolled: 1-line block ×8, first 2 shown]
	v_add_f64_e32 v[98:99], v[98:99], v[106:107]
	v_add_f64_e32 v[100:101], v[100:101], v[108:109]
	v_fma_f64 v[106:107], v[130:131], s[16:17], v[82:83]
	v_fma_f64 v[156:157], v[132:133], s[16:17], v[102:103]
	;; [unrolled: 1-line block ×8, first 2 shown]
	v_add_lshl_u32 v116, v77, v76, 4
	v_fma_f64 v[102:103], v[124:125], s[20:21], v[120:121]
	v_fma_f64 v[104:105], v[110:111], s[16:17], v[122:123]
	;; [unrolled: 1-line block ×8, first 2 shown]
	v_add_f64_e32 v[78:79], v[98:99], v[90:91]
	v_add_f64_e32 v[80:81], v[100:101], v[92:93]
	v_add_f64_e64 v[82:83], v[98:99], -v[90:91]
	v_add_f64_e64 v[84:85], v[100:101], -v[92:93]
	v_add_f64_e32 v[86:87], v[106:107], v[102:103]
	v_add_f64_e32 v[90:91], v[130:131], v[104:105]
	;; [unrolled: 1-line block ×8, first 2 shown]
	v_add_f64_e64 v[102:103], v[106:107], -v[102:103]
	v_add_f64_e64 v[106:107], v[130:131], -v[104:105]
	;; [unrolled: 1-line block ×8, first 2 shown]
	v_mad_co_u64_u32 v[125:126], null, 0x90, v113, s[10:11]
	ds_store_b128 v116, v[78:81]
	ds_store_b128 v116, v[86:89] offset:160
	ds_store_b128 v116, v[90:93] offset:320
	;; [unrolled: 1-line block ×9, first 2 shown]
	global_wb scope:SCOPE_SE
	s_wait_dscnt 0x0
	s_barrier_signal -1
	s_barrier_wait -1
	global_inv scope:SCOPE_SE
	s_clause 0x8
	global_load_b128 v[76:79], v[125:126], off offset:1472
	global_load_b128 v[84:87], v[125:126], off offset:1504
	;; [unrolled: 1-line block ×9, first 2 shown]
	ds_load_b128 v[117:120], v114 offset:4800
	ds_load_b128 v[121:124], v114 offset:8000
	;; [unrolled: 1-line block ×6, first 2 shown]
	ds_load_b128 v[141:144], v114
	s_wait_loadcnt_dscnt 0x806
	v_mul_f64_e32 v[147:148], v[117:118], v[78:79]
	s_wait_loadcnt_dscnt 0x705
	v_mul_f64_e32 v[149:150], v[123:124], v[86:87]
	v_mul_f64_e32 v[151:152], v[121:122], v[86:87]
	s_wait_loadcnt_dscnt 0x604
	v_mul_f64_e32 v[153:154], v[125:126], v[82:83]
	s_wait_loadcnt_dscnt 0x503
	v_mul_f64_e32 v[155:156], v[129:130], v[110:111]
	v_mul_f64_e32 v[159:160], v[127:128], v[82:83]
	;; [unrolled: 1-line block ×4, first 2 shown]
	s_wait_loadcnt_dscnt 0x402
	v_mul_f64_e32 v[161:162], v[135:136], v[90:91]
	v_mul_f64_e32 v[163:164], v[133:134], v[90:91]
	v_fma_f64 v[147:148], v[119:120], v[76:77], v[147:148]
	v_fma_f64 v[149:150], v[121:122], v[84:85], -v[149:150]
	v_fma_f64 v[151:152], v[123:124], v[84:85], v[151:152]
	v_fma_f64 v[153:154], v[127:128], v[80:81], v[153:154]
	;; [unrolled: 1-line block ×3, first 2 shown]
	v_fma_f64 v[155:156], v[125:126], v[80:81], -v[159:160]
	v_fma_f64 v[145:146], v[117:118], v[76:77], -v[145:146]
	;; [unrolled: 1-line block ×3, first 2 shown]
	ds_load_b128 v[117:120], v114 offset:6400
	ds_load_b128 v[121:124], v114 offset:9600
	;; [unrolled: 1-line block ×3, first 2 shown]
	s_wait_loadcnt_dscnt 0x304
	v_mul_f64_e32 v[157:158], v[139:140], v[106:107]
	v_mul_f64_e32 v[159:160], v[137:138], v[106:107]
	v_fma_f64 v[133:134], v[133:134], v[88:89], -v[161:162]
	v_fma_f64 v[135:136], v[135:136], v[88:89], v[163:164]
	s_wait_loadcnt_dscnt 0x202
	v_mul_f64_e32 v[165:166], v[119:120], v[102:103]
	v_mul_f64_e32 v[167:168], v[117:118], v[102:103]
	s_wait_loadcnt_dscnt 0x101
	v_mul_f64_e32 v[169:170], v[123:124], v[98:99]
	s_wait_loadcnt_dscnt 0x0
	v_mul_f64_e32 v[171:172], v[127:128], v[94:95]
	v_mul_f64_e32 v[173:174], v[121:122], v[98:99]
	;; [unrolled: 1-line block ×3, first 2 shown]
	v_add_f64_e64 v[189:190], v[147:148], -v[151:152]
	v_add_f64_e32 v[161:162], v[151:152], v[153:154]
	v_add_f64_e32 v[163:164], v[147:148], v[131:132]
	;; [unrolled: 1-line block ×3, first 2 shown]
	v_add_f64_e64 v[181:182], v[145:146], -v[149:150]
	v_add_f64_e32 v[177:178], v[145:146], v[129:130]
	v_add_f64_e64 v[183:184], v[129:130], -v[155:156]
	v_fma_f64 v[137:138], v[137:138], v[104:105], -v[157:158]
	v_fma_f64 v[139:140], v[139:140], v[104:105], v[159:160]
	v_add_f64_e64 v[157:158], v[149:150], -v[155:156]
	v_add_f64_e64 v[159:160], v[151:152], -v[153:154]
	;; [unrolled: 1-line block ×7, first 2 shown]
	v_fma_f64 v[117:118], v[117:118], v[100:101], -v[165:166]
	v_fma_f64 v[119:120], v[119:120], v[100:101], v[167:168]
	v_fma_f64 v[121:122], v[121:122], v[96:97], -v[169:170]
	v_fma_f64 v[125:126], v[125:126], v[92:93], -v[171:172]
	v_fma_f64 v[123:124], v[123:124], v[96:97], v[173:174]
	v_fma_f64 v[127:128], v[127:128], v[92:93], v[175:176]
	v_add_f64_e64 v[165:166], v[147:148], -v[131:132]
	v_add_f64_e64 v[167:168], v[145:146], -v[129:130]
	v_fma_f64 v[161:162], v[161:162], -0.5, v[135:136]
	v_fma_f64 v[163:164], v[163:164], -0.5, v[135:136]
	;; [unrolled: 1-line block ×3, first 2 shown]
	v_add_f64_e32 v[135:136], v[135:136], v[147:148]
	v_fma_f64 v[169:170], v[177:178], -0.5, v[133:134]
	v_add_f64_e32 v[133:134], v[133:134], v[145:146]
	v_add_f64_e32 v[205:206], v[141:142], v[137:138]
	;; [unrolled: 1-line block ×7, first 2 shown]
	v_add_f64_e64 v[209:210], v[117:118], -v[121:122]
	v_add_f64_e64 v[145:146], v[119:120], -v[123:124]
	;; [unrolled: 1-line block ×3, first 2 shown]
	v_fma_f64 v[197:198], v[167:168], s[14:15], v[161:162]
	v_fma_f64 v[199:200], v[157:158], s[2:3], v[163:164]
	;; [unrolled: 1-line block ×8, first 2 shown]
	v_add_f64_e32 v[133:134], v[133:134], v[149:150]
	v_add_f64_e32 v[135:136], v[135:136], v[151:152]
	v_fma_f64 v[173:174], v[173:174], -0.5, v[141:142]
	v_fma_f64 v[141:142], v[175:176], -0.5, v[141:142]
	;; [unrolled: 1-line block ×4, first 2 shown]
	v_add_f64_e64 v[177:178], v[137:138], -v[125:126]
	v_add_f64_e32 v[179:180], v[181:182], v[183:184]
	v_add_f64_e32 v[181:182], v[185:186], v[187:188]
	;; [unrolled: 1-line block ×4, first 2 shown]
	v_add_f64_e64 v[195:196], v[127:128], -v[123:124]
	v_fma_f64 v[187:188], v[157:158], s[18:19], v[197:198]
	v_fma_f64 v[189:190], v[167:168], s[18:19], v[199:200]
	;; [unrolled: 1-line block ×8, first 2 shown]
	v_add_f64_e64 v[161:162], v[137:138], -v[117:118]
	v_add_f64_e64 v[137:138], v[117:118], -v[137:138]
	;; [unrolled: 1-line block ×4, first 2 shown]
	v_add_f64_e32 v[117:118], v[205:206], v[117:118]
	v_add_f64_e32 v[119:120], v[207:208], v[119:120]
	v_add_f64_e64 v[167:168], v[125:126], -v[121:122]
	v_add_f64_e64 v[169:170], v[121:122], -v[125:126]
	;; [unrolled: 1-line block ×3, first 2 shown]
	v_fma_f64 v[149:150], v[147:148], s[2:3], v[173:174]
	v_fma_f64 v[151:152], v[147:148], s[14:15], v[173:174]
	v_fma_f64 v[173:174], v[145:146], s[14:15], v[141:142]
	v_fma_f64 v[141:142], v[145:146], s[2:3], v[141:142]
	v_fma_f64 v[199:200], v[177:178], s[14:15], v[175:176]
	v_fma_f64 v[201:202], v[209:210], s[2:3], v[143:144]
	v_fma_f64 v[143:144], v[209:210], s[14:15], v[143:144]
	v_fma_f64 v[175:176], v[177:178], s[2:3], v[175:176]
	v_fma_f64 v[187:188], v[183:184], s[16:17], v[187:188]
	v_fma_f64 v[189:190], v[185:186], s[16:17], v[189:190]
	v_fma_f64 v[193:194], v[179:180], s[16:17], v[193:194]
	v_fma_f64 v[159:160], v[179:180], s[16:17], v[159:160]
	v_fma_f64 v[191:192], v[181:182], s[16:17], v[191:192]
	v_fma_f64 v[165:166], v[181:182], s[16:17], v[165:166]
	v_fma_f64 v[163:164], v[185:186], s[16:17], v[163:164]
	v_fma_f64 v[157:158], v[183:184], s[16:17], v[157:158]
	v_add_f64_e32 v[117:118], v[117:118], v[121:122]
	v_add_f64_e32 v[119:120], v[119:120], v[123:124]
	;; [unrolled: 1-line block ×8, first 2 shown]
	v_fma_f64 v[133:134], v[145:146], s[12:13], v[149:150]
	v_fma_f64 v[135:136], v[145:146], s[18:19], v[151:152]
	;; [unrolled: 1-line block ×8, first 2 shown]
	v_mul_f64_e32 v[153:154], s[12:13], v[187:188]
	v_mul_f64_e32 v[155:156], s[2:3], v[189:190]
	;; [unrolled: 1-line block ×8, first 2 shown]
	v_add_f64_e32 v[125:126], v[117:118], v[125:126]
	v_add_f64_e32 v[127:128], v[119:120], v[127:128]
	v_add_f64_e32 v[121:122], v[121:122], v[129:130]
	v_add_f64_e32 v[123:124], v[123:124], v[131:132]
	v_fma_f64 v[181:182], v[161:162], s[16:17], v[133:134]
	v_fma_f64 v[161:162], v[161:162], s[16:17], v[135:136]
	;; [unrolled: 1-line block ×16, first 2 shown]
	v_add_f64_e32 v[117:118], v[125:126], v[121:122]
	v_add_f64_e32 v[119:120], v[127:128], v[123:124]
	v_add_f64_e64 v[121:122], v[125:126], -v[121:122]
	v_add_f64_e64 v[123:124], v[127:128], -v[123:124]
	v_add_f64_e32 v[125:126], v[181:182], v[141:142]
	v_add_f64_e32 v[129:130], v[145:146], v[143:144]
	;; [unrolled: 1-line block ×8, first 2 shown]
	v_add_f64_e64 v[141:142], v[181:182], -v[141:142]
	v_add_f64_e64 v[145:146], v[145:146], -v[143:144]
	;; [unrolled: 1-line block ×8, first 2 shown]
	ds_store_b128 v114, v[117:120]
	ds_store_b128 v114, v[125:128] offset:1600
	ds_store_b128 v114, v[129:132] offset:3200
	;; [unrolled: 1-line block ×9, first 2 shown]
	global_wb scope:SCOPE_SE
	s_wait_dscnt 0x0
	s_barrier_signal -1
	s_barrier_wait -1
	global_inv scope:SCOPE_SE
	global_load_b128 v[117:120], v114, s[8:9] offset:16000
	s_add_nc_u64 s[8:9], s[8:9], 0x3e80
	s_clause 0x8
	global_load_b128 v[121:124], v114, s[8:9] offset:1600
	global_load_b128 v[125:128], v114, s[8:9] offset:3200
	;; [unrolled: 1-line block ×9, first 2 shown]
	ds_load_b128 v[157:160], v114
	ds_load_b128 v[161:164], v114 offset:1600
	ds_load_b128 v[165:168], v114 offset:3200
	;; [unrolled: 1-line block ×8, first 2 shown]
	s_wait_loadcnt_dscnt 0x807
	v_mul_f64_e32 v[195:196], v[163:164], v[123:124]
	v_mul_f64_e32 v[123:124], v[161:162], v[123:124]
	s_wait_loadcnt_dscnt 0x706
	v_mul_f64_e32 v[197:198], v[167:168], v[127:128]
	v_mul_f64_e32 v[127:128], v[165:166], v[127:128]
	;; [unrolled: 3-line block ×3, first 2 shown]
	v_mul_f64_e32 v[119:120], v[157:158], v[119:120]
	v_mul_f64_e32 v[131:132], v[169:170], v[131:132]
	s_wait_loadcnt_dscnt 0x302
	v_mul_f64_e32 v[201:202], v[183:184], v[143:144]
	v_mul_f64_e32 v[143:144], v[181:182], v[143:144]
	v_fma_f64 v[161:162], v[161:162], v[121:122], -v[195:196]
	v_mul_f64_e32 v[195:196], v[179:180], v[139:140]
	v_mul_f64_e32 v[139:140], v[177:178], v[139:140]
	v_fma_f64 v[163:164], v[163:164], v[121:122], v[123:124]
	v_fma_f64 v[121:122], v[165:166], v[125:126], -v[197:198]
	v_fma_f64 v[157:158], v[157:158], v[117:118], -v[193:194]
	v_fma_f64 v[159:160], v[159:160], v[117:118], v[119:120]
	ds_load_b128 v[117:120], v114 offset:14400
	v_mul_f64_e32 v[193:194], v[175:176], v[135:136]
	v_mul_f64_e32 v[135:136], v[173:174], v[135:136]
	s_wait_loadcnt_dscnt 0x202
	v_mul_f64_e32 v[165:166], v[187:188], v[147:148]
	v_mul_f64_e32 v[147:148], v[185:186], v[147:148]
	v_fma_f64 v[123:124], v[167:168], v[125:126], v[127:128]
	s_wait_loadcnt_dscnt 0x101
	v_mul_f64_e32 v[167:168], v[191:192], v[151:152]
	v_mul_f64_e32 v[151:152], v[189:190], v[151:152]
	v_fma_f64 v[125:126], v[169:170], v[129:130], -v[199:200]
	v_fma_f64 v[127:128], v[171:172], v[129:130], v[131:132]
	s_wait_loadcnt_dscnt 0x0
	v_mul_f64_e32 v[169:170], v[119:120], v[155:156]
	v_mul_f64_e32 v[155:156], v[117:118], v[155:156]
	v_fma_f64 v[129:130], v[173:174], v[133:134], -v[193:194]
	v_fma_f64 v[131:132], v[175:176], v[133:134], v[135:136]
	v_fma_f64 v[133:134], v[177:178], v[137:138], -v[195:196]
	v_fma_f64 v[135:136], v[179:180], v[137:138], v[139:140]
	;; [unrolled: 2-line block ×6, first 2 shown]
	ds_store_b128 v114, v[157:160]
	ds_store_b128 v114, v[161:164] offset:1600
	ds_store_b128 v114, v[121:124] offset:3200
	ds_store_b128 v114, v[125:128] offset:4800
	ds_store_b128 v114, v[129:132] offset:6400
	ds_store_b128 v114, v[133:136] offset:8000
	ds_store_b128 v114, v[137:140] offset:9600
	ds_store_b128 v114, v[141:144] offset:11200
	ds_store_b128 v114, v[145:148] offset:12800
	ds_store_b128 v114, v[117:120] offset:14400
	global_wb scope:SCOPE_SE
	s_wait_dscnt 0x0
	s_barrier_signal -1
	s_barrier_wait -1
	global_inv scope:SCOPE_SE
	ds_load_b128 v[117:120], v114 offset:4800
	ds_load_b128 v[121:124], v114 offset:8000
	;; [unrolled: 1-line block ×6, first 2 shown]
	s_wait_dscnt 0x4
	v_add_f64_e64 v[179:180], v[117:118], -v[121:122]
	s_wait_dscnt 0x3
	v_add_f64_e32 v[141:142], v[123:124], v[127:128]
	v_add_f64_e32 v[145:146], v[121:122], v[125:126]
	s_wait_dscnt 0x2
	v_add_f64_e32 v[143:144], v[119:120], v[131:132]
	v_add_f64_e32 v[157:158], v[117:118], v[129:130]
	v_add_f64_e64 v[161:162], v[117:118], -v[129:130]
	v_add_f64_e64 v[167:168], v[119:120], -v[131:132]
	;; [unrolled: 1-line block ×9, first 2 shown]
	s_wait_dscnt 0x1
	v_add_f64_e32 v[119:120], v[135:136], v[119:120]
	v_add_f64_e64 v[207:208], v[125:126], -v[129:130]
	v_fma_f64 v[163:164], v[141:142], -0.5, v[135:136]
	v_fma_f64 v[169:170], v[145:146], -0.5, v[133:134]
	;; [unrolled: 1-line block ×3, first 2 shown]
	ds_load_b128 v[141:144], v114 offset:9600
	ds_load_b128 v[145:148], v114 offset:6400
	;; [unrolled: 1-line block ×3, first 2 shown]
	ds_load_b128 v[153:156], v114
	v_fma_f64 v[157:158], v[157:158], -0.5, v[133:134]
	v_add_f64_e32 v[133:134], v[133:134], v[117:118]
	v_add_f64_e64 v[117:118], v[121:122], -v[117:118]
	global_wb scope:SCOPE_SE
	s_wait_dscnt 0x0
	s_barrier_signal -1
	s_barrier_wait -1
	global_inv scope:SCOPE_SE
	v_add_f64_e32 v[119:120], v[119:120], v[123:124]
	v_add_f64_e32 v[171:172], v[145:146], v[141:142]
	;; [unrolled: 1-line block ×7, first 2 shown]
	v_add_f64_e64 v[135:136], v[139:140], -v[151:152]
	v_add_f64_e64 v[203:204], v[137:138], -v[149:150]
	;; [unrolled: 1-line block ×4, first 2 shown]
	v_fma_f64 v[193:194], v[161:162], s[2:3], v[163:164]
	v_fma_f64 v[163:164], v[161:162], s[14:15], v[163:164]
	;; [unrolled: 1-line block ×6, first 2 shown]
	v_add_f64_e32 v[121:122], v[133:134], v[121:122]
	v_add_f64_e32 v[117:118], v[117:118], v[207:208]
	v_add_f64_e32 v[119:120], v[119:120], v[127:128]
	v_fma_f64 v[171:172], v[171:172], -0.5, v[153:154]
	v_fma_f64 v[153:154], v[173:174], -0.5, v[153:154]
	;; [unrolled: 1-line block ×4, first 2 shown]
	v_add_f64_e32 v[175:176], v[179:180], v[185:186]
	v_add_f64_e32 v[177:178], v[181:182], v[187:188]
	;; [unrolled: 1-line block ×3, first 2 shown]
	v_fma_f64 v[181:182], v[191:192], s[2:3], v[157:158]
	v_fma_f64 v[157:158], v[191:192], s[14:15], v[157:158]
	v_add_f64_e32 v[123:124], v[201:202], v[147:148]
	v_add_f64_e64 v[187:188], v[139:140], -v[147:148]
	v_add_f64_e64 v[139:140], v[147:148], -v[139:140]
	;; [unrolled: 1-line block ×3, first 2 shown]
	v_fma_f64 v[183:184], v[159:160], s[12:13], v[193:194]
	v_fma_f64 v[159:160], v[159:160], s[18:19], v[163:164]
	;; [unrolled: 1-line block ×5, first 2 shown]
	v_add_f64_e64 v[165:166], v[137:138], -v[145:146]
	v_add_f64_e64 v[137:138], v[145:146], -v[137:138]
	v_add_f64_e32 v[145:146], v[199:200], v[145:146]
	v_add_f64_e64 v[193:194], v[141:142], -v[149:150]
	v_add_f64_e64 v[195:196], v[151:152], -v[143:144]
	v_fma_f64 v[169:170], v[191:192], s[12:13], v[169:170]
	v_add_f64_e64 v[197:198], v[143:144], -v[151:152]
	v_add_f64_e32 v[121:122], v[121:122], v[125:126]
	v_fma_f64 v[133:134], v[135:136], s[14:15], v[171:172]
	v_fma_f64 v[147:148], v[135:136], s[2:3], v[171:172]
	;; [unrolled: 1-line block ×10, first 2 shown]
	v_add_f64_e32 v[123:124], v[123:124], v[143:144]
	v_fma_f64 v[167:168], v[177:178], s[16:17], v[183:184]
	v_fma_f64 v[159:160], v[177:178], s[16:17], v[159:160]
	;; [unrolled: 1-line block ×5, first 2 shown]
	v_add_f64_e32 v[165:166], v[165:166], v[189:190]
	v_add_f64_e32 v[125:126], v[145:146], v[141:142]
	;; [unrolled: 1-line block ×7, first 2 shown]
	v_fma_f64 v[127:128], v[205:206], s[18:19], v[133:134]
	v_fma_f64 v[133:134], v[205:206], s[12:13], v[147:148]
	;; [unrolled: 1-line block ×11, first 2 shown]
	v_add_f64_e32 v[123:124], v[123:124], v[151:152]
	v_mul_f64_e32 v[157:158], s[18:19], v[167:168]
	v_mul_f64_e32 v[175:176], s[18:19], v[159:160]
	;; [unrolled: 1-line block ×8, first 2 shown]
	v_add_f64_e32 v[125:126], v[125:126], v[149:150]
	v_fma_f64 v[149:150], v[165:166], s[16:17], v[127:128]
	v_fma_f64 v[151:152], v[165:166], s[16:17], v[133:134]
	;; [unrolled: 1-line block ×8, first 2 shown]
	v_add_f64_e32 v[119:120], v[123:124], v[129:130]
	v_add_f64_e64 v[123:124], v[123:124], -v[129:130]
	v_fma_f64 v[141:142], v[163:164], s[20:21], v[157:158]
	v_fma_f64 v[157:158], v[155:156], s[24:25], v[175:176]
	;; [unrolled: 1-line block ×8, first 2 shown]
	v_add_f64_e32 v[117:118], v[125:126], v[121:122]
	v_add_f64_e64 v[121:122], v[125:126], -v[121:122]
	v_add_f64_e32 v[125:126], v[149:150], v[141:142]
	v_add_f64_e32 v[137:138], v[151:152], v[157:158]
	v_add_f64_e32 v[127:128], v[143:144], v[163:164]
	v_add_f64_e32 v[129:130], v[165:166], v[145:146]
	v_add_f64_e32 v[131:132], v[147:148], v[167:168]
	v_add_f64_e32 v[133:134], v[183:184], v[153:154]
	v_add_f64_e32 v[135:136], v[185:186], v[161:162]
	v_add_f64_e32 v[139:140], v[177:178], v[155:156]
	v_add_f64_e64 v[141:142], v[149:150], -v[141:142]
	v_add_f64_e64 v[143:144], v[143:144], -v[163:164]
	;; [unrolled: 1-line block ×8, first 2 shown]
	ds_store_b128 v115, v[117:120]
	ds_store_b128 v115, v[125:128] offset:16
	ds_store_b128 v115, v[129:132] offset:32
	;; [unrolled: 1-line block ×9, first 2 shown]
	global_wb scope:SCOPE_SE
	s_wait_dscnt 0x0
	s_barrier_signal -1
	s_barrier_wait -1
	global_inv scope:SCOPE_SE
	ds_load_b128 v[117:120], v114 offset:4800
	ds_load_b128 v[121:124], v114 offset:8000
	;; [unrolled: 1-line block ×9, first 2 shown]
	ds_load_b128 v[153:156], v114
	global_wb scope:SCOPE_SE
	s_wait_dscnt 0x0
	s_barrier_signal -1
	s_barrier_wait -1
	global_inv scope:SCOPE_SE
	v_mul_f64_e32 v[157:158], v[42:43], v[117:118]
	v_mul_f64_e32 v[159:160], v[50:51], v[121:122]
	;; [unrolled: 1-line block ×10, first 2 shown]
	v_fma_f64 v[119:120], v[40:41], v[119:120], -v[157:158]
	v_fma_f64 v[123:124], v[48:49], v[123:124], -v[159:160]
	v_fma_f64 v[127:128], v[44:45], v[127:128], -v[161:162]
	v_fma_f64 v[131:132], v[72:73], v[131:132], -v[163:164]
	v_mul_f64_e32 v[157:158], v[70:71], v[135:136]
	v_mul_f64_e32 v[70:71], v[70:71], v[133:134]
	;; [unrolled: 1-line block ×8, first 2 shown]
	v_fma_f64 v[40:41], v[40:41], v[117:118], v[42:43]
	v_fma_f64 v[42:43], v[48:49], v[121:122], v[50:51]
	;; [unrolled: 1-line block ×4, first 2 shown]
	v_fma_f64 v[48:49], v[52:53], v[151:152], -v[165:166]
	v_fma_f64 v[52:53], v[52:53], v[149:150], v[54:55]
	v_add_f64_e32 v[50:51], v[123:124], v[127:128]
	v_add_f64_e32 v[72:73], v[119:120], v[131:132]
	v_fma_f64 v[74:75], v[68:69], v[133:134], v[157:158]
	v_fma_f64 v[68:69], v[68:69], v[135:136], -v[70:71]
	v_fma_f64 v[70:71], v[64:65], v[137:138], v[159:160]
	v_fma_f64 v[64:65], v[64:65], v[139:140], -v[66:67]
	v_fma_f64 v[66:67], v[60:61], v[141:142], v[161:162]
	v_fma_f64 v[117:118], v[56:57], v[145:146], v[163:164]
	v_fma_f64 v[60:61], v[60:61], v[143:144], -v[62:63]
	v_fma_f64 v[56:57], v[56:57], v[147:148], -v[58:59]
	v_add_f64_e64 v[137:138], v[119:120], -v[131:132]
	v_add_f64_e64 v[139:140], v[119:120], -v[123:124]
	v_add_f64_e32 v[54:55], v[42:43], v[44:45]
	v_add_f64_e32 v[58:59], v[40:41], v[46:47]
	v_add_f64_e64 v[62:63], v[40:41], -v[46:47]
	v_add_f64_e64 v[121:122], v[42:43], -v[44:45]
	;; [unrolled: 1-line block ×9, first 2 shown]
	v_fma_f64 v[50:51], v[50:51], -0.5, v[48:49]
	v_fma_f64 v[72:73], v[72:73], -0.5, v[48:49]
	v_add_f64_e32 v[157:158], v[153:154], v[74:75]
	v_add_f64_e32 v[163:164], v[155:156], v[68:69]
	v_add_f64_e32 v[48:49], v[48:49], v[119:120]
	v_add_f64_e64 v[171:172], v[68:69], -v[64:65]
	v_add_f64_e32 v[125:126], v[70:71], v[66:67]
	v_add_f64_e32 v[129:130], v[74:75], v[117:118]
	;; [unrolled: 1-line block ×4, first 2 shown]
	v_add_f64_e64 v[159:160], v[68:69], -v[56:57]
	v_add_f64_e64 v[161:162], v[64:65], -v[60:61]
	v_fma_f64 v[54:55], v[54:55], -0.5, v[52:53]
	v_fma_f64 v[58:59], v[58:59], -0.5, v[52:53]
	v_add_f64_e32 v[52:53], v[52:53], v[40:41]
	v_add_f64_e64 v[40:41], v[42:43], -v[40:41]
	v_add_f64_e32 v[139:140], v[139:140], v[141:142]
	v_add_f64_e64 v[68:69], v[64:65], -v[68:69]
	;; [unrolled: 2-line block ×3, first 2 shown]
	v_add_f64_e64 v[175:176], v[60:61], -v[56:57]
	v_fma_f64 v[149:150], v[62:63], s[2:3], v[50:51]
	v_fma_f64 v[151:152], v[121:122], s[14:15], v[72:73]
	;; [unrolled: 1-line block ×4, first 2 shown]
	v_add_f64_e32 v[64:65], v[163:164], v[64:65]
	v_add_f64_e32 v[48:49], v[48:49], v[123:124]
	v_fma_f64 v[119:120], v[125:126], -0.5, v[153:154]
	v_add_f64_e64 v[125:126], v[74:75], -v[117:118]
	v_fma_f64 v[129:130], v[129:130], -0.5, v[153:154]
	v_add_f64_e64 v[153:154], v[70:71], -v[66:67]
	v_fma_f64 v[133:134], v[133:134], -0.5, v[155:156]
	v_fma_f64 v[135:136], v[135:136], -0.5, v[155:156]
	v_fma_f64 v[143:144], v[137:138], s[14:15], v[54:55]
	v_fma_f64 v[54:55], v[137:138], s[2:3], v[54:55]
	;; [unrolled: 1-line block ×4, first 2 shown]
	v_add_f64_e32 v[42:43], v[52:53], v[42:43]
	v_add_f64_e64 v[155:156], v[66:67], -v[117:118]
	v_add_f64_e32 v[52:53], v[165:166], v[167:168]
	v_add_f64_e32 v[40:41], v[40:41], v[169:170]
	;; [unrolled: 1-line block ×3, first 2 shown]
	v_fma_f64 v[149:150], v[121:122], s[12:13], v[149:150]
	v_fma_f64 v[151:152], v[62:63], s[12:13], v[151:152]
	v_fma_f64 v[62:63], v[62:63], s[18:19], v[72:73]
	v_fma_f64 v[50:51], v[121:122], s[18:19], v[50:51]
	v_add_f64_e64 v[72:73], v[74:75], -v[70:71]
	v_add_f64_e64 v[74:75], v[70:71], -v[74:75]
	v_add_f64_e32 v[70:71], v[157:158], v[70:71]
	v_add_f64_e64 v[121:122], v[117:118], -v[66:67]
	v_fma_f64 v[123:124], v[159:160], s[14:15], v[119:120]
	v_fma_f64 v[119:120], v[159:160], s[2:3], v[119:120]
	;; [unrolled: 1-line block ×12, first 2 shown]
	v_add_f64_e32 v[60:61], v[64:65], v[60:61]
	v_add_f64_e32 v[42:43], v[42:43], v[44:45]
	;; [unrolled: 1-line block ×3, first 2 shown]
	v_fma_f64 v[137:138], v[139:140], s[16:17], v[149:150]
	v_fma_f64 v[147:148], v[141:142], s[16:17], v[151:152]
	;; [unrolled: 1-line block ×4, first 2 shown]
	v_add_f64_e32 v[74:75], v[74:75], v[155:156]
	v_add_f64_e32 v[66:67], v[70:71], v[66:67]
	;; [unrolled: 1-line block ×4, first 2 shown]
	v_fma_f64 v[48:49], v[161:162], s[18:19], v[123:124]
	v_fma_f64 v[64:65], v[161:162], s[12:13], v[119:120]
	;; [unrolled: 1-line block ×12, first 2 shown]
	v_add_f64_e32 v[56:57], v[60:61], v[56:57]
	v_add_f64_e32 v[46:47], v[42:43], v[46:47]
	;; [unrolled: 1-line block ×3, first 2 shown]
	v_mul_f64_e32 v[58:59], s[18:19], v[137:138]
	v_mul_f64_e32 v[137:138], s[20:21], v[137:138]
	;; [unrolled: 1-line block ×8, first 2 shown]
	v_add_f64_e32 v[66:67], v[66:67], v[117:118]
	v_fma_f64 v[117:118], v[72:73], s[16:17], v[48:49]
	v_fma_f64 v[131:132], v[72:73], s[16:17], v[64:65]
	;; [unrolled: 1-line block ×8, first 2 shown]
	v_add_f64_e32 v[42:43], v[56:57], v[60:61]
	v_fma_f64 v[64:65], v[133:134], s[20:21], v[58:59]
	v_fma_f64 v[129:130], v[133:134], s[12:13], v[137:138]
	;; [unrolled: 1-line block ×8, first 2 shown]
	v_add_f64_e32 v[40:41], v[66:67], v[46:47]
	v_add_f64_e64 v[44:45], v[66:67], -v[46:47]
	v_add_f64_e64 v[46:47], v[56:57], -v[60:61]
	v_add_f64_e32 v[48:49], v[117:118], v[64:65]
	v_add_f64_e32 v[50:51], v[74:75], v[129:130]
	;; [unrolled: 1-line block ×8, first 2 shown]
	v_add_f64_e64 v[64:65], v[117:118], -v[64:65]
	v_add_f64_e64 v[66:67], v[74:75], -v[129:130]
	v_add_f64_e64 v[68:69], v[70:71], -v[68:69]
	v_add_f64_e64 v[70:71], v[121:122], -v[133:134]
	v_add_f64_e64 v[72:73], v[72:73], -v[125:126]
	v_add_f64_e64 v[74:75], v[123:124], -v[135:136]
	v_add_f64_e64 v[117:118], v[131:132], -v[127:128]
	v_add_f64_e64 v[119:120], v[119:120], -v[137:138]
	ds_store_b128 v116, v[40:43]
	ds_store_b128 v116, v[48:51] offset:160
	ds_store_b128 v116, v[52:55] offset:320
	;; [unrolled: 1-line block ×9, first 2 shown]
	global_wb scope:SCOPE_SE
	s_wait_dscnt 0x0
	s_barrier_signal -1
	s_barrier_wait -1
	global_inv scope:SCOPE_SE
	ds_load_b128 v[40:43], v114 offset:4800
	ds_load_b128 v[44:47], v114 offset:8000
	;; [unrolled: 1-line block ×9, first 2 shown]
	ds_load_b128 v[115:118], v114
	s_wait_dscnt 0x9
	v_mul_f64_e32 v[119:120], v[78:79], v[40:41]
	s_wait_dscnt 0x8
	v_mul_f64_e32 v[121:122], v[86:87], v[44:45]
	;; [unrolled: 2-line block ×4, first 2 shown]
	v_mul_f64_e32 v[78:79], v[78:79], v[42:43]
	v_mul_f64_e32 v[86:87], v[86:87], v[46:47]
	v_mul_f64_e32 v[82:83], v[82:83], v[50:51]
	s_wait_dscnt 0x1
	v_mul_f64_e32 v[127:128], v[90:91], v[72:73]
	v_mul_f64_e32 v[110:111], v[110:111], v[54:55]
	;; [unrolled: 1-line block ×3, first 2 shown]
	v_fma_f64 v[42:43], v[76:77], v[42:43], -v[119:120]
	v_fma_f64 v[46:47], v[84:85], v[46:47], -v[121:122]
	;; [unrolled: 1-line block ×4, first 2 shown]
	v_mul_f64_e32 v[119:120], v[106:107], v[58:59]
	v_mul_f64_e32 v[121:122], v[102:103], v[62:63]
	;; [unrolled: 1-line block ×6, first 2 shown]
	v_fma_f64 v[40:41], v[76:77], v[40:41], v[78:79]
	v_fma_f64 v[44:45], v[84:85], v[44:45], v[86:87]
	;; [unrolled: 1-line block ×4, first 2 shown]
	v_fma_f64 v[74:75], v[88:89], v[74:75], -v[127:128]
	v_mul_f64_e32 v[106:107], v[106:107], v[56:57]
	v_mul_f64_e32 v[94:95], v[94:95], v[68:69]
	v_fma_f64 v[72:73], v[88:89], v[72:73], v[90:91]
	v_add_f64_e32 v[76:77], v[46:47], v[50:51]
	v_add_f64_e32 v[78:79], v[42:43], v[54:55]
	v_fma_f64 v[56:57], v[104:105], v[56:57], v[119:120]
	v_fma_f64 v[60:61], v[100:101], v[60:61], v[121:122]
	v_fma_f64 v[62:63], v[100:101], v[62:63], -v[102:103]
	v_fma_f64 v[64:65], v[96:97], v[64:65], v[123:124]
	v_fma_f64 v[68:69], v[92:93], v[68:69], v[125:126]
	v_fma_f64 v[66:67], v[96:97], v[66:67], -v[98:99]
	v_add_f64_e64 v[96:97], v[42:43], -v[54:55]
	v_add_f64_e64 v[98:99], v[42:43], -v[46:47]
	v_add_f64_e32 v[80:81], v[44:45], v[48:49]
	v_add_f64_e32 v[82:83], v[40:41], v[52:53]
	v_add_f64_e64 v[84:85], v[40:41], -v[52:53]
	v_fma_f64 v[58:59], v[104:105], v[58:59], -v[106:107]
	v_fma_f64 v[70:71], v[92:93], v[70:71], -v[94:95]
	v_add_f64_e64 v[86:87], v[44:45], -v[48:49]
	v_add_f64_e64 v[100:101], v[54:55], -v[50:51]
	;; [unrolled: 1-line block ×5, first 2 shown]
	v_add_f64_e32 v[42:43], v[74:75], v[42:43]
	v_add_f64_e64 v[127:128], v[40:41], -v[44:45]
	v_add_f64_e64 v[129:130], v[52:53], -v[48:49]
	;; [unrolled: 1-line block ×3, first 2 shown]
	v_fma_f64 v[76:77], v[76:77], -0.5, v[74:75]
	v_fma_f64 v[78:79], v[78:79], -0.5, v[74:75]
	s_wait_dscnt 0x0
	v_add_f64_e32 v[119:120], v[115:116], v[56:57]
	v_add_f64_e32 v[88:89], v[60:61], v[64:65]
	;; [unrolled: 1-line block ×4, first 2 shown]
	v_add_f64_e64 v[123:124], v[62:63], -v[66:67]
	v_fma_f64 v[80:81], v[80:81], -0.5, v[72:73]
	v_fma_f64 v[82:83], v[82:83], -0.5, v[72:73]
	v_add_f64_e32 v[72:73], v[72:73], v[40:41]
	v_add_f64_e32 v[125:126], v[117:118], v[58:59]
	;; [unrolled: 1-line block ×3, first 2 shown]
	v_add_f64_e64 v[121:122], v[58:59], -v[70:71]
	v_add_f64_e64 v[40:41], v[44:45], -v[40:41]
	v_add_f64_e32 v[98:99], v[98:99], v[100:101]
	v_add_f64_e32 v[100:101], v[102:103], v[104:105]
	v_add_f64_e64 v[133:134], v[58:59], -v[62:63]
	v_add_f64_e64 v[58:59], v[62:63], -v[58:59]
	v_add_f64_e32 v[42:43], v[42:43], v[46:47]
	v_add_f64_e64 v[135:136], v[70:71], -v[66:67]
	v_add_f64_e64 v[137:138], v[66:67], -v[70:71]
	v_fma_f64 v[108:109], v[84:85], s[2:3], v[76:77]
	v_fma_f64 v[110:111], v[86:87], s[14:15], v[78:79]
	;; [unrolled: 1-line block ×4, first 2 shown]
	v_fma_f64 v[74:75], v[88:89], -0.5, v[115:116]
	v_add_f64_e64 v[88:89], v[56:57], -v[68:69]
	v_fma_f64 v[90:91], v[90:91], -0.5, v[115:116]
	v_fma_f64 v[92:93], v[92:93], -0.5, v[117:118]
	v_add_f64_e64 v[115:116], v[60:61], -v[64:65]
	v_fma_f64 v[102:103], v[96:97], s[14:15], v[80:81]
	v_fma_f64 v[80:81], v[96:97], s[2:3], v[80:81]
	;; [unrolled: 1-line block ×4, first 2 shown]
	v_fma_f64 v[94:95], v[94:95], -0.5, v[117:118]
	v_add_f64_e32 v[62:63], v[125:126], v[62:63]
	v_add_f64_e32 v[44:45], v[72:73], v[44:45]
	v_add_f64_e64 v[117:118], v[64:65], -v[68:69]
	v_add_f64_e32 v[72:73], v[127:128], v[129:130]
	v_add_f64_e32 v[40:41], v[40:41], v[131:132]
	;; [unrolled: 1-line block ×4, first 2 shown]
	v_fma_f64 v[108:109], v[86:87], s[12:13], v[108:109]
	v_fma_f64 v[110:111], v[84:85], s[12:13], v[110:111]
	;; [unrolled: 1-line block ×4, first 2 shown]
	v_add_f64_e64 v[84:85], v[56:57], -v[60:61]
	v_add_f64_e64 v[56:57], v[60:61], -v[56:57]
	v_add_f64_e32 v[60:61], v[119:120], v[60:61]
	v_add_f64_e64 v[86:87], v[68:69], -v[64:65]
	v_fma_f64 v[46:47], v[121:122], s[14:15], v[74:75]
	v_fma_f64 v[74:75], v[121:122], s[2:3], v[74:75]
	;; [unrolled: 1-line block ×12, first 2 shown]
	v_add_f64_e32 v[62:63], v[62:63], v[66:67]
	v_add_f64_e32 v[44:45], v[44:45], v[48:49]
	v_fma_f64 v[96:97], v[98:99], s[16:17], v[108:109]
	v_fma_f64 v[106:107], v[100:101], s[16:17], v[110:111]
	v_fma_f64 v[78:79], v[100:101], s[16:17], v[78:79]
	v_fma_f64 v[76:77], v[98:99], s[16:17], v[76:77]
	v_add_f64_e32 v[56:57], v[56:57], v[117:118]
	v_add_f64_e32 v[60:61], v[60:61], v[64:65]
	;; [unrolled: 1-line block ×4, first 2 shown]
	v_fma_f64 v[46:47], v[123:124], s[18:19], v[46:47]
	v_fma_f64 v[48:49], v[123:124], s[12:13], v[74:75]
	;; [unrolled: 1-line block ×12, first 2 shown]
	v_add_f64_e32 v[62:63], v[62:63], v[70:71]
	v_add_f64_e32 v[44:45], v[44:45], v[52:53]
	;; [unrolled: 1-line block ×3, first 2 shown]
	v_mul_f64_e32 v[82:83], s[18:19], v[96:97]
	v_mul_f64_e32 v[96:97], s[20:21], v[96:97]
	;; [unrolled: 1-line block ×8, first 2 shown]
	v_add_f64_e32 v[60:61], v[60:61], v[68:69]
	v_fma_f64 v[68:69], v[84:85], s[16:17], v[46:47]
	v_fma_f64 v[70:71], v[84:85], s[16:17], v[48:49]
	;; [unrolled: 1-line block ×8, first 2 shown]
	v_add_f64_e32 v[42:43], v[62:63], v[52:53]
	v_add_f64_e64 v[46:47], v[62:63], -v[52:53]
	v_fma_f64 v[64:65], v[92:93], s[20:21], v[82:83]
	v_fma_f64 v[92:93], v[92:93], s[12:13], v[96:97]
	;; [unrolled: 1-line block ×8, first 2 shown]
	v_add_f64_e32 v[40:41], v[60:61], v[44:45]
	v_add_f64_e64 v[44:45], v[60:61], -v[44:45]
	s_mov_b32 s2, 0xd2f1a9fc
	s_mov_b32 s3, 0x3f50624d
	v_add_f64_e32 v[48:49], v[68:69], v[64:65]
	v_add_f64_e32 v[50:51], v[66:67], v[92:93]
	;; [unrolled: 1-line block ×8, first 2 shown]
	v_add_f64_e64 v[64:65], v[68:69], -v[64:65]
	v_add_f64_e64 v[66:67], v[66:67], -v[92:93]
	;; [unrolled: 1-line block ×8, first 2 shown]
	ds_store_b128 v114, v[40:43]
	ds_store_b128 v114, v[48:51] offset:1600
	ds_store_b128 v114, v[52:55] offset:3200
	;; [unrolled: 1-line block ×9, first 2 shown]
	global_wb scope:SCOPE_SE
	s_wait_dscnt 0x0
	s_barrier_signal -1
	s_barrier_wait -1
	global_inv scope:SCOPE_SE
	ds_load_b128 v[40:43], v114
	ds_load_b128 v[44:47], v114 offset:1600
	ds_load_b128 v[48:51], v114 offset:3200
	;; [unrolled: 1-line block ×9, first 2 shown]
	v_mad_co_u64_u32 v[80:81], null, s6, v112, 0
	v_mad_co_u64_u32 v[82:83], null, s4, v113, 0
	s_delay_alu instid0(VALU_DEP_1)
	v_mad_co_u64_u32 v[84:85], null, s7, v112, v[81:82]
	s_wait_dscnt 0x9
	v_mul_f64_e32 v[85:86], v[6:7], v[42:43]
	v_mul_f64_e32 v[6:7], v[6:7], v[40:41]
	s_wait_dscnt 0x8
	v_mul_f64_e32 v[87:88], v[2:3], v[46:47]
	v_mul_f64_e32 v[2:3], v[2:3], v[44:45]
	;; [unrolled: 3-line block ×10, first 2 shown]
	v_mad_co_u64_u32 v[105:106], null, s5, v113, v[83:84]
	v_mov_b32_e32 v81, v84
	s_delay_alu instid0(VALU_DEP_1) | instskip(NEXT) | instid1(VALU_DEP_3)
	v_lshlrev_b64_e32 v[80:81], 4, v[80:81]
	v_mov_b32_e32 v83, v105
	s_delay_alu instid0(VALU_DEP_1) | instskip(NEXT) | instid1(VALU_DEP_3)
	v_lshlrev_b64_e32 v[82:83], 4, v[82:83]
	v_add_co_u32 v80, vcc_lo, s0, v80
	s_wait_alu 0xfffd
	s_delay_alu instid0(VALU_DEP_4)
	v_add_co_ci_u32_e32 v81, vcc_lo, s1, v81, vcc_lo
	v_fma_f64 v[40:41], v[4:5], v[40:41], v[85:86]
	v_fma_f64 v[4:5], v[4:5], v[42:43], -v[6:7]
	v_fma_f64 v[6:7], v[0:1], v[44:45], v[87:88]
	v_fma_f64 v[42:43], v[0:1], v[46:47], -v[2:3]
	;; [unrolled: 2-line block ×10, first 2 shown]
	v_add_co_u32 v60, vcc_lo, v80, v82
	s_wait_alu 0xfffd
	v_add_co_ci_u32_e32 v61, vcc_lo, v81, v83, vcc_lo
	s_mul_u64 s[0:1], s[4:5], 0x640
	s_wait_alu 0xfffe
	v_add_co_u32 v62, vcc_lo, v60, s0
	s_wait_alu 0xfffd
	v_add_co_ci_u32_e32 v63, vcc_lo, s1, v61, vcc_lo
	s_delay_alu instid0(VALU_DEP_2) | instskip(SKIP_1) | instid1(VALU_DEP_2)
	v_add_co_u32 v64, vcc_lo, v62, s0
	s_wait_alu 0xfffd
	v_add_co_ci_u32_e32 v65, vcc_lo, s1, v63, vcc_lo
	s_delay_alu instid0(VALU_DEP_2)
	v_add_co_u32 v66, vcc_lo, v64, s0
	v_mul_f64_e32 v[0:1], s[2:3], v[40:41]
	v_mul_f64_e32 v[2:3], s[2:3], v[4:5]
	;; [unrolled: 1-line block ×16, first 2 shown]
	s_wait_alu 0xfffd
	v_add_co_ci_u32_e32 v67, vcc_lo, s1, v65, vcc_lo
	v_mul_f64_e32 v[32:33], s[2:3], v[56:57]
	v_mul_f64_e32 v[34:35], s[2:3], v[34:35]
	;; [unrolled: 1-line block ×4, first 2 shown]
	v_add_co_u32 v40, vcc_lo, v66, s0
	s_wait_alu 0xfffd
	v_add_co_ci_u32_e32 v41, vcc_lo, s1, v67, vcc_lo
	s_delay_alu instid0(VALU_DEP_2) | instskip(SKIP_1) | instid1(VALU_DEP_2)
	v_add_co_u32 v42, vcc_lo, v40, s0
	s_wait_alu 0xfffd
	v_add_co_ci_u32_e32 v43, vcc_lo, s1, v41, vcc_lo
	s_delay_alu instid0(VALU_DEP_2) | instskip(SKIP_1) | instid1(VALU_DEP_2)
	;; [unrolled: 4-line block ×5, first 2 shown]
	v_add_co_u32 v50, vcc_lo, v48, s0
	s_wait_alu 0xfffd
	v_add_co_ci_u32_e32 v51, vcc_lo, s1, v49, vcc_lo
	s_clause 0x4
	global_store_b128 v[60:61], v[0:3], off
	global_store_b128 v[62:63], v[4:7], off
	;; [unrolled: 1-line block ×10, first 2 shown]
.LBB0_2:
	s_nop 0
	s_sendmsg sendmsg(MSG_DEALLOC_VGPRS)
	s_endpgm
	.section	.rodata,"a",@progbits
	.p2align	6, 0x0
	.amdhsa_kernel bluestein_single_fwd_len1000_dim1_dp_op_CI_CI
		.amdhsa_group_segment_fixed_size 16000
		.amdhsa_private_segment_fixed_size 0
		.amdhsa_kernarg_size 104
		.amdhsa_user_sgpr_count 2
		.amdhsa_user_sgpr_dispatch_ptr 0
		.amdhsa_user_sgpr_queue_ptr 0
		.amdhsa_user_sgpr_kernarg_segment_ptr 1
		.amdhsa_user_sgpr_dispatch_id 0
		.amdhsa_user_sgpr_private_segment_size 0
		.amdhsa_wavefront_size32 1
		.amdhsa_uses_dynamic_stack 0
		.amdhsa_enable_private_segment 0
		.amdhsa_system_sgpr_workgroup_id_x 1
		.amdhsa_system_sgpr_workgroup_id_y 0
		.amdhsa_system_sgpr_workgroup_id_z 0
		.amdhsa_system_sgpr_workgroup_info 0
		.amdhsa_system_vgpr_workitem_id 0
		.amdhsa_next_free_vgpr 211
		.amdhsa_next_free_sgpr 26
		.amdhsa_reserve_vcc 1
		.amdhsa_float_round_mode_32 0
		.amdhsa_float_round_mode_16_64 0
		.amdhsa_float_denorm_mode_32 3
		.amdhsa_float_denorm_mode_16_64 3
		.amdhsa_fp16_overflow 0
		.amdhsa_workgroup_processor_mode 1
		.amdhsa_memory_ordered 1
		.amdhsa_forward_progress 0
		.amdhsa_round_robin_scheduling 0
		.amdhsa_exception_fp_ieee_invalid_op 0
		.amdhsa_exception_fp_denorm_src 0
		.amdhsa_exception_fp_ieee_div_zero 0
		.amdhsa_exception_fp_ieee_overflow 0
		.amdhsa_exception_fp_ieee_underflow 0
		.amdhsa_exception_fp_ieee_inexact 0
		.amdhsa_exception_int_div_zero 0
	.end_amdhsa_kernel
	.text
.Lfunc_end0:
	.size	bluestein_single_fwd_len1000_dim1_dp_op_CI_CI, .Lfunc_end0-bluestein_single_fwd_len1000_dim1_dp_op_CI_CI
                                        ; -- End function
	.section	.AMDGPU.csdata,"",@progbits
; Kernel info:
; codeLenInByte = 11172
; NumSgprs: 28
; NumVgprs: 211
; ScratchSize: 0
; MemoryBound: 0
; FloatMode: 240
; IeeeMode: 1
; LDSByteSize: 16000 bytes/workgroup (compile time only)
; SGPRBlocks: 3
; VGPRBlocks: 26
; NumSGPRsForWavesPerEU: 28
; NumVGPRsForWavesPerEU: 211
; Occupancy: 7
; WaveLimiterHint : 1
; COMPUTE_PGM_RSRC2:SCRATCH_EN: 0
; COMPUTE_PGM_RSRC2:USER_SGPR: 2
; COMPUTE_PGM_RSRC2:TRAP_HANDLER: 0
; COMPUTE_PGM_RSRC2:TGID_X_EN: 1
; COMPUTE_PGM_RSRC2:TGID_Y_EN: 0
; COMPUTE_PGM_RSRC2:TGID_Z_EN: 0
; COMPUTE_PGM_RSRC2:TIDIG_COMP_CNT: 0
	.text
	.p2alignl 7, 3214868480
	.fill 96, 4, 3214868480
	.type	__hip_cuid_a116e8e25d12b98a,@object ; @__hip_cuid_a116e8e25d12b98a
	.section	.bss,"aw",@nobits
	.globl	__hip_cuid_a116e8e25d12b98a
__hip_cuid_a116e8e25d12b98a:
	.byte	0                               ; 0x0
	.size	__hip_cuid_a116e8e25d12b98a, 1

	.ident	"AMD clang version 19.0.0git (https://github.com/RadeonOpenCompute/llvm-project roc-6.4.0 25133 c7fe45cf4b819c5991fe208aaa96edf142730f1d)"
	.section	".note.GNU-stack","",@progbits
	.addrsig
	.addrsig_sym __hip_cuid_a116e8e25d12b98a
	.amdgpu_metadata
---
amdhsa.kernels:
  - .args:
      - .actual_access:  read_only
        .address_space:  global
        .offset:         0
        .size:           8
        .value_kind:     global_buffer
      - .actual_access:  read_only
        .address_space:  global
        .offset:         8
        .size:           8
        .value_kind:     global_buffer
      - .actual_access:  read_only
        .address_space:  global
        .offset:         16
        .size:           8
        .value_kind:     global_buffer
      - .actual_access:  read_only
        .address_space:  global
        .offset:         24
        .size:           8
        .value_kind:     global_buffer
      - .actual_access:  read_only
        .address_space:  global
        .offset:         32
        .size:           8
        .value_kind:     global_buffer
      - .offset:         40
        .size:           8
        .value_kind:     by_value
      - .address_space:  global
        .offset:         48
        .size:           8
        .value_kind:     global_buffer
      - .address_space:  global
        .offset:         56
        .size:           8
        .value_kind:     global_buffer
      - .address_space:  global
        .offset:         64
        .size:           8
        .value_kind:     global_buffer
      - .address_space:  global
        .offset:         72
        .size:           8
        .value_kind:     global_buffer
      - .offset:         80
        .size:           4
        .value_kind:     by_value
      - .address_space:  global
        .offset:         88
        .size:           8
        .value_kind:     global_buffer
      - .address_space:  global
        .offset:         96
        .size:           8
        .value_kind:     global_buffer
    .group_segment_fixed_size: 16000
    .kernarg_segment_align: 8
    .kernarg_segment_size: 104
    .language:       OpenCL C
    .language_version:
      - 2
      - 0
    .max_flat_workgroup_size: 100
    .name:           bluestein_single_fwd_len1000_dim1_dp_op_CI_CI
    .private_segment_fixed_size: 0
    .sgpr_count:     28
    .sgpr_spill_count: 0
    .symbol:         bluestein_single_fwd_len1000_dim1_dp_op_CI_CI.kd
    .uniform_work_group_size: 1
    .uses_dynamic_stack: false
    .vgpr_count:     211
    .vgpr_spill_count: 0
    .wavefront_size: 32
    .workgroup_processor_mode: 1
amdhsa.target:   amdgcn-amd-amdhsa--gfx1201
amdhsa.version:
  - 1
  - 2
...

	.end_amdgpu_metadata
